;; amdgpu-corpus repo=ROCm/rocFFT kind=compiled arch=gfx1201 opt=O3
	.text
	.amdgcn_target "amdgcn-amd-amdhsa--gfx1201"
	.amdhsa_code_object_version 6
	.protected	fft_rtc_fwd_len1040_factors_13_16_5_wgs_208_tpt_208_halfLds_half_ip_CI_unitstride_sbrr_dirReg ; -- Begin function fft_rtc_fwd_len1040_factors_13_16_5_wgs_208_tpt_208_halfLds_half_ip_CI_unitstride_sbrr_dirReg
	.globl	fft_rtc_fwd_len1040_factors_13_16_5_wgs_208_tpt_208_halfLds_half_ip_CI_unitstride_sbrr_dirReg
	.p2align	8
	.type	fft_rtc_fwd_len1040_factors_13_16_5_wgs_208_tpt_208_halfLds_half_ip_CI_unitstride_sbrr_dirReg,@function
fft_rtc_fwd_len1040_factors_13_16_5_wgs_208_tpt_208_halfLds_half_ip_CI_unitstride_sbrr_dirReg: ; @fft_rtc_fwd_len1040_factors_13_16_5_wgs_208_tpt_208_halfLds_half_ip_CI_unitstride_sbrr_dirReg
; %bb.0:
	s_clause 0x2
	s_load_b128 s[4:7], s[0:1], 0x0
	s_load_b64 s[8:9], s[0:1], 0x50
	s_load_b64 s[10:11], s[0:1], 0x18
	v_mul_u32_u24_e32 v1, 0x13c, v0
	v_mov_b32_e32 v3, 0
	s_delay_alu instid0(VALU_DEP_2) | instskip(NEXT) | instid1(VALU_DEP_1)
	v_lshrrev_b32_e32 v1, 16, v1
	v_add_nc_u32_e32 v5, ttmp9, v1
	v_mov_b32_e32 v1, 0
	v_mov_b32_e32 v2, 0
	;; [unrolled: 1-line block ×3, first 2 shown]
	s_wait_kmcnt 0x0
	v_cmp_lt_u64_e64 s2, s[6:7], 2
	s_delay_alu instid0(VALU_DEP_1)
	s_and_b32 vcc_lo, exec_lo, s2
	s_cbranch_vccnz .LBB0_8
; %bb.1:
	s_load_b64 s[2:3], s[0:1], 0x10
	v_mov_b32_e32 v1, 0
	v_mov_b32_e32 v2, 0
	s_add_nc_u64 s[12:13], s[10:11], 8
	s_mov_b64 s[14:15], 1
	s_wait_kmcnt 0x0
	s_add_nc_u64 s[16:17], s[2:3], 8
	s_mov_b32 s3, 0
.LBB0_2:                                ; =>This Inner Loop Header: Depth=1
	s_load_b64 s[18:19], s[16:17], 0x0
                                        ; implicit-def: $vgpr11_vgpr12
	s_mov_b32 s2, exec_lo
	s_wait_kmcnt 0x0
	v_or_b32_e32 v4, s19, v6
	s_delay_alu instid0(VALU_DEP_1)
	v_cmpx_ne_u64_e32 0, v[3:4]
	s_wait_alu 0xfffe
	s_xor_b32 s20, exec_lo, s2
	s_cbranch_execz .LBB0_4
; %bb.3:                                ;   in Loop: Header=BB0_2 Depth=1
	s_cvt_f32_u32 s2, s18
	s_cvt_f32_u32 s21, s19
	s_sub_nc_u64 s[24:25], 0, s[18:19]
	s_wait_alu 0xfffe
	s_delay_alu instid0(SALU_CYCLE_1) | instskip(SKIP_1) | instid1(SALU_CYCLE_2)
	s_fmamk_f32 s2, s21, 0x4f800000, s2
	s_wait_alu 0xfffe
	v_s_rcp_f32 s2, s2
	s_delay_alu instid0(TRANS32_DEP_1) | instskip(SKIP_1) | instid1(SALU_CYCLE_2)
	s_mul_f32 s2, s2, 0x5f7ffffc
	s_wait_alu 0xfffe
	s_mul_f32 s21, s2, 0x2f800000
	s_wait_alu 0xfffe
	s_delay_alu instid0(SALU_CYCLE_2) | instskip(SKIP_1) | instid1(SALU_CYCLE_2)
	s_trunc_f32 s21, s21
	s_wait_alu 0xfffe
	s_fmamk_f32 s2, s21, 0xcf800000, s2
	s_cvt_u32_f32 s23, s21
	s_wait_alu 0xfffe
	s_delay_alu instid0(SALU_CYCLE_1) | instskip(SKIP_1) | instid1(SALU_CYCLE_2)
	s_cvt_u32_f32 s22, s2
	s_wait_alu 0xfffe
	s_mul_u64 s[26:27], s[24:25], s[22:23]
	s_wait_alu 0xfffe
	s_mul_hi_u32 s29, s22, s27
	s_mul_i32 s28, s22, s27
	s_mul_hi_u32 s2, s22, s26
	s_mul_i32 s30, s23, s26
	s_wait_alu 0xfffe
	s_add_nc_u64 s[28:29], s[2:3], s[28:29]
	s_mul_hi_u32 s21, s23, s26
	s_mul_hi_u32 s31, s23, s27
	s_add_co_u32 s2, s28, s30
	s_wait_alu 0xfffe
	s_add_co_ci_u32 s2, s29, s21
	s_mul_i32 s26, s23, s27
	s_add_co_ci_u32 s27, s31, 0
	s_wait_alu 0xfffe
	s_add_nc_u64 s[26:27], s[2:3], s[26:27]
	s_wait_alu 0xfffe
	v_add_co_u32 v4, s2, s22, s26
	s_delay_alu instid0(VALU_DEP_1) | instskip(SKIP_1) | instid1(VALU_DEP_1)
	s_cmp_lg_u32 s2, 0
	s_add_co_ci_u32 s23, s23, s27
	v_readfirstlane_b32 s22, v4
	s_wait_alu 0xfffe
	s_delay_alu instid0(VALU_DEP_1)
	s_mul_u64 s[24:25], s[24:25], s[22:23]
	s_wait_alu 0xfffe
	s_mul_hi_u32 s27, s22, s25
	s_mul_i32 s26, s22, s25
	s_mul_hi_u32 s2, s22, s24
	s_mul_i32 s28, s23, s24
	s_wait_alu 0xfffe
	s_add_nc_u64 s[26:27], s[2:3], s[26:27]
	s_mul_hi_u32 s21, s23, s24
	s_mul_hi_u32 s22, s23, s25
	s_wait_alu 0xfffe
	s_add_co_u32 s2, s26, s28
	s_add_co_ci_u32 s2, s27, s21
	s_mul_i32 s24, s23, s25
	s_add_co_ci_u32 s25, s22, 0
	s_wait_alu 0xfffe
	s_add_nc_u64 s[24:25], s[2:3], s[24:25]
	s_wait_alu 0xfffe
	v_add_co_u32 v4, s2, v4, s24
	s_delay_alu instid0(VALU_DEP_1) | instskip(SKIP_1) | instid1(VALU_DEP_1)
	s_cmp_lg_u32 s2, 0
	s_add_co_ci_u32 s2, s23, s25
	v_mul_hi_u32 v13, v5, v4
	s_wait_alu 0xfffe
	v_mad_co_u64_u32 v[7:8], null, v5, s2, 0
	v_mad_co_u64_u32 v[9:10], null, v6, v4, 0
	;; [unrolled: 1-line block ×3, first 2 shown]
	s_delay_alu instid0(VALU_DEP_3) | instskip(SKIP_1) | instid1(VALU_DEP_4)
	v_add_co_u32 v4, vcc_lo, v13, v7
	s_wait_alu 0xfffd
	v_add_co_ci_u32_e32 v7, vcc_lo, 0, v8, vcc_lo
	s_delay_alu instid0(VALU_DEP_2) | instskip(SKIP_1) | instid1(VALU_DEP_2)
	v_add_co_u32 v4, vcc_lo, v4, v9
	s_wait_alu 0xfffd
	v_add_co_ci_u32_e32 v4, vcc_lo, v7, v10, vcc_lo
	s_wait_alu 0xfffd
	v_add_co_ci_u32_e32 v7, vcc_lo, 0, v12, vcc_lo
	s_delay_alu instid0(VALU_DEP_2) | instskip(SKIP_1) | instid1(VALU_DEP_2)
	v_add_co_u32 v4, vcc_lo, v4, v11
	s_wait_alu 0xfffd
	v_add_co_ci_u32_e32 v9, vcc_lo, 0, v7, vcc_lo
	s_delay_alu instid0(VALU_DEP_2) | instskip(SKIP_1) | instid1(VALU_DEP_3)
	v_mul_lo_u32 v10, s19, v4
	v_mad_co_u64_u32 v[7:8], null, s18, v4, 0
	v_mul_lo_u32 v11, s18, v9
	s_delay_alu instid0(VALU_DEP_2) | instskip(NEXT) | instid1(VALU_DEP_2)
	v_sub_co_u32 v7, vcc_lo, v5, v7
	v_add3_u32 v8, v8, v11, v10
	s_delay_alu instid0(VALU_DEP_1) | instskip(SKIP_1) | instid1(VALU_DEP_1)
	v_sub_nc_u32_e32 v10, v6, v8
	s_wait_alu 0xfffd
	v_subrev_co_ci_u32_e64 v10, s2, s19, v10, vcc_lo
	v_add_co_u32 v11, s2, v4, 2
	s_wait_alu 0xf1ff
	v_add_co_ci_u32_e64 v12, s2, 0, v9, s2
	v_sub_co_u32 v13, s2, v7, s18
	v_sub_co_ci_u32_e32 v8, vcc_lo, v6, v8, vcc_lo
	s_wait_alu 0xf1ff
	v_subrev_co_ci_u32_e64 v10, s2, 0, v10, s2
	s_delay_alu instid0(VALU_DEP_3) | instskip(NEXT) | instid1(VALU_DEP_3)
	v_cmp_le_u32_e32 vcc_lo, s18, v13
	v_cmp_eq_u32_e64 s2, s19, v8
	s_wait_alu 0xfffd
	v_cndmask_b32_e64 v13, 0, -1, vcc_lo
	v_cmp_le_u32_e32 vcc_lo, s19, v10
	s_wait_alu 0xfffd
	v_cndmask_b32_e64 v14, 0, -1, vcc_lo
	v_cmp_le_u32_e32 vcc_lo, s18, v7
	;; [unrolled: 3-line block ×3, first 2 shown]
	s_wait_alu 0xfffd
	v_cndmask_b32_e64 v15, 0, -1, vcc_lo
	v_cmp_eq_u32_e32 vcc_lo, s19, v10
	s_wait_alu 0xf1ff
	s_delay_alu instid0(VALU_DEP_2)
	v_cndmask_b32_e64 v7, v15, v7, s2
	s_wait_alu 0xfffd
	v_cndmask_b32_e32 v10, v14, v13, vcc_lo
	v_add_co_u32 v13, vcc_lo, v4, 1
	s_wait_alu 0xfffd
	v_add_co_ci_u32_e32 v14, vcc_lo, 0, v9, vcc_lo
	s_delay_alu instid0(VALU_DEP_3) | instskip(SKIP_2) | instid1(VALU_DEP_3)
	v_cmp_ne_u32_e32 vcc_lo, 0, v10
	s_wait_alu 0xfffd
	v_cndmask_b32_e32 v10, v13, v11, vcc_lo
	v_cndmask_b32_e32 v8, v14, v12, vcc_lo
	v_cmp_ne_u32_e32 vcc_lo, 0, v7
	s_wait_alu 0xfffd
	s_delay_alu instid0(VALU_DEP_2)
	v_dual_cndmask_b32 v11, v4, v10 :: v_dual_cndmask_b32 v12, v9, v8
.LBB0_4:                                ;   in Loop: Header=BB0_2 Depth=1
	s_wait_alu 0xfffe
	s_and_not1_saveexec_b32 s2, s20
	s_cbranch_execz .LBB0_6
; %bb.5:                                ;   in Loop: Header=BB0_2 Depth=1
	v_cvt_f32_u32_e32 v4, s18
	s_sub_co_i32 s20, 0, s18
	v_mov_b32_e32 v12, v3
	s_delay_alu instid0(VALU_DEP_2) | instskip(NEXT) | instid1(TRANS32_DEP_1)
	v_rcp_iflag_f32_e32 v4, v4
	v_mul_f32_e32 v4, 0x4f7ffffe, v4
	s_delay_alu instid0(VALU_DEP_1) | instskip(SKIP_1) | instid1(VALU_DEP_1)
	v_cvt_u32_f32_e32 v4, v4
	s_wait_alu 0xfffe
	v_mul_lo_u32 v7, s20, v4
	s_delay_alu instid0(VALU_DEP_1) | instskip(NEXT) | instid1(VALU_DEP_1)
	v_mul_hi_u32 v7, v4, v7
	v_add_nc_u32_e32 v4, v4, v7
	s_delay_alu instid0(VALU_DEP_1) | instskip(NEXT) | instid1(VALU_DEP_1)
	v_mul_hi_u32 v4, v5, v4
	v_mul_lo_u32 v7, v4, s18
	v_add_nc_u32_e32 v8, 1, v4
	s_delay_alu instid0(VALU_DEP_2) | instskip(NEXT) | instid1(VALU_DEP_1)
	v_sub_nc_u32_e32 v7, v5, v7
	v_subrev_nc_u32_e32 v9, s18, v7
	v_cmp_le_u32_e32 vcc_lo, s18, v7
	s_wait_alu 0xfffd
	s_delay_alu instid0(VALU_DEP_2) | instskip(NEXT) | instid1(VALU_DEP_1)
	v_dual_cndmask_b32 v7, v7, v9 :: v_dual_cndmask_b32 v4, v4, v8
	v_cmp_le_u32_e32 vcc_lo, s18, v7
	s_delay_alu instid0(VALU_DEP_2) | instskip(SKIP_1) | instid1(VALU_DEP_1)
	v_add_nc_u32_e32 v8, 1, v4
	s_wait_alu 0xfffd
	v_cndmask_b32_e32 v11, v4, v8, vcc_lo
.LBB0_6:                                ;   in Loop: Header=BB0_2 Depth=1
	s_wait_alu 0xfffe
	s_or_b32 exec_lo, exec_lo, s2
	s_load_b64 s[20:21], s[12:13], 0x0
	v_mul_lo_u32 v4, v12, s18
	v_mul_lo_u32 v9, v11, s19
	v_mad_co_u64_u32 v[7:8], null, v11, s18, 0
	s_add_nc_u64 s[14:15], s[14:15], 1
	s_add_nc_u64 s[12:13], s[12:13], 8
	s_wait_alu 0xfffe
	v_cmp_ge_u64_e64 s2, s[14:15], s[6:7]
	s_add_nc_u64 s[16:17], s[16:17], 8
	s_delay_alu instid0(VALU_DEP_2) | instskip(NEXT) | instid1(VALU_DEP_3)
	v_add3_u32 v4, v8, v9, v4
	v_sub_co_u32 v5, vcc_lo, v5, v7
	s_wait_alu 0xfffd
	s_delay_alu instid0(VALU_DEP_2) | instskip(SKIP_3) | instid1(VALU_DEP_2)
	v_sub_co_ci_u32_e32 v4, vcc_lo, v6, v4, vcc_lo
	s_and_b32 vcc_lo, exec_lo, s2
	s_wait_kmcnt 0x0
	v_mul_lo_u32 v6, s21, v5
	v_mul_lo_u32 v4, s20, v4
	v_mad_co_u64_u32 v[1:2], null, s20, v5, v[1:2]
	s_delay_alu instid0(VALU_DEP_1)
	v_add3_u32 v2, v6, v2, v4
	s_wait_alu 0xfffe
	s_cbranch_vccnz .LBB0_9
; %bb.7:                                ;   in Loop: Header=BB0_2 Depth=1
	v_dual_mov_b32 v5, v11 :: v_dual_mov_b32 v6, v12
	s_branch .LBB0_2
.LBB0_8:
	v_dual_mov_b32 v12, v6 :: v_dual_mov_b32 v11, v5
.LBB0_9:
	s_lshl_b64 s[2:3], s[6:7], 3
	v_mul_hi_u32 v3, 0x13b13b2, v0
	s_wait_alu 0xfffe
	s_add_nc_u64 s[2:3], s[10:11], s[2:3]
	v_mov_b32_e32 v4, 0
	s_load_b64 s[2:3], s[2:3], 0x0
	s_load_b64 s[0:1], s[0:1], 0x20
	v_mov_b32_e32 v10, 0
                                        ; implicit-def: $vgpr40
                                        ; implicit-def: $vgpr23
                                        ; implicit-def: $vgpr38
                                        ; implicit-def: $vgpr24
                                        ; implicit-def: $vgpr37
                                        ; implicit-def: $vgpr26
                                        ; implicit-def: $vgpr35
                                        ; implicit-def: $vgpr27
                                        ; implicit-def: $vgpr33
                                        ; implicit-def: $vgpr28
                                        ; implicit-def: $vgpr25
                                        ; implicit-def: $vgpr29
                                        ; implicit-def: $vgpr22
                                        ; implicit-def: $vgpr30
                                        ; implicit-def: $vgpr16
                                        ; implicit-def: $vgpr31
                                        ; implicit-def: $vgpr32
                                        ; implicit-def: $vgpr34
                                        ; implicit-def: $vgpr36
                                        ; implicit-def: $vgpr39
	s_wait_kmcnt 0x0
	v_mul_lo_u32 v5, s2, v12
	v_mul_lo_u32 v6, s3, v11
	v_mad_co_u64_u32 v[7:8], null, s2, v11, v[1:2]
	v_mul_u32_u24_e32 v1, 0xd0, v3
	v_cmp_gt_u64_e32 vcc_lo, s[0:1], v[11:12]
                                        ; implicit-def: $vgpr12
                                        ; implicit-def: $vgpr11
	s_delay_alu instid0(VALU_DEP_2)
	v_sub_nc_u32_e32 v9, v0, v1
	v_mov_b32_e32 v1, 0
	v_add3_u32 v8, v6, v8, v5
                                        ; implicit-def: $vgpr6
                                        ; implicit-def: $vgpr5
	s_and_saveexec_b32 s1, vcc_lo
	s_cbranch_execz .LBB0_13
; %bb.10:
	v_cmp_gt_u32_e64 s0, 0x50, v9
	v_dual_mov_b32 v1, 0 :: v_dual_mov_b32 v4, 0
                                        ; implicit-def: $vgpr39
                                        ; implicit-def: $vgpr5
                                        ; implicit-def: $vgpr36
                                        ; implicit-def: $vgpr6
                                        ; implicit-def: $vgpr34
                                        ; implicit-def: $vgpr11
                                        ; implicit-def: $vgpr32
                                        ; implicit-def: $vgpr12
                                        ; implicit-def: $vgpr31
                                        ; implicit-def: $vgpr16
                                        ; implicit-def: $vgpr30
                                        ; implicit-def: $vgpr22
                                        ; implicit-def: $vgpr29
                                        ; implicit-def: $vgpr25
                                        ; implicit-def: $vgpr28
                                        ; implicit-def: $vgpr33
                                        ; implicit-def: $vgpr27
                                        ; implicit-def: $vgpr35
                                        ; implicit-def: $vgpr26
                                        ; implicit-def: $vgpr37
                                        ; implicit-def: $vgpr24
                                        ; implicit-def: $vgpr38
                                        ; implicit-def: $vgpr23
                                        ; implicit-def: $vgpr40
	s_delay_alu instid0(VALU_DEP_2)
	s_and_saveexec_b32 s2, s0
	s_cbranch_execz .LBB0_12
; %bb.11:
	v_mov_b32_e32 v10, 0
	v_lshlrev_b64_e32 v[0:1], 2, v[7:8]
	s_delay_alu instid0(VALU_DEP_2) | instskip(NEXT) | instid1(VALU_DEP_2)
	v_lshlrev_b64_e32 v[2:3], 2, v[9:10]
	v_add_co_u32 v0, s0, s8, v0
	s_wait_alu 0xf1ff
	s_delay_alu instid0(VALU_DEP_3) | instskip(NEXT) | instid1(VALU_DEP_2)
	v_add_co_ci_u32_e64 v1, s0, s9, v1, s0
	v_add_co_u32 v2, s0, v0, v2
	s_wait_alu 0xf1ff
	s_delay_alu instid0(VALU_DEP_2)
	v_add_co_ci_u32_e64 v3, s0, v1, v3, s0
	s_clause 0xc
	global_load_b32 v1, v[2:3], off
	global_load_b32 v23, v[2:3], off offset:320
	global_load_b32 v24, v[2:3], off offset:640
	;; [unrolled: 1-line block ×12, first 2 shown]
	s_wait_loadcnt 0xc
	v_lshrrev_b32_e32 v4, 16, v1
	s_wait_loadcnt 0xb
	v_lshrrev_b32_e32 v40, 16, v23
	;; [unrolled: 2-line block ×13, first 2 shown]
.LBB0_12:
	s_wait_alu 0xfffe
	s_or_b32 exec_lo, exec_lo, s2
	v_mov_b32_e32 v10, v9
.LBB0_13:
	s_wait_alu 0xfffe
	s_or_b32 exec_lo, exec_lo, s1
	v_add_f16_e32 v2, v23, v39
	v_sub_f16_e32 v3, v40, v5
	v_add_f16_e32 v13, v24, v36
	v_sub_f16_e32 v15, v38, v6
	v_add_f16_e32 v17, v26, v34
	v_pk_mul_f16 v14, 0x388b3b15, v2 op_sel_hi:[1,0]
	v_add_f16_e32 v0, v1, v23
	v_pk_mul_f16 v44, 0xb5ac388b, v13 op_sel_hi:[1,0]
	v_sub_f16_e32 v18, v37, v11
	v_pk_mul_f16 v45, 0xbbc42fb7, v17 op_sel_hi:[1,0]
	v_pk_fma_f16 v53, 0xba95b770, v3, v14 op_sel_hi:[1,0,1] neg_lo:[0,1,0] neg_hi:[0,1,0]
	v_pk_mul_f16 v49, 0xb5ac2fb7, v2 op_sel_hi:[1,0]
	v_pk_fma_f16 v54, 0xbb7bba95, v15, v44 op_sel_hi:[1,0,1] neg_lo:[0,1,0] neg_hi:[0,1,0]
	v_pk_fma_f16 v14, 0xba95b770, v3, v14 op_sel_hi:[1,0,1]
	v_add_f16_e32 v0, v0, v24
	v_pk_add_f16 v53, v1, v53 op_sel_hi:[0,1]
	v_add_f16_e32 v19, v27, v32
	v_pk_mul_f16 v50, 0xb9fdbbc4, v13 op_sel_hi:[1,0]
	v_pk_fma_f16 v55, 0xb3a8bbf1, v18, v45 op_sel_hi:[1,0,1] neg_lo:[0,1,0] neg_hi:[0,1,0]
	v_pk_fma_f16 v44, 0xbb7bba95, v15, v44 op_sel_hi:[1,0,1]
	v_pk_add_f16 v53, v54, v53
	v_pk_add_f16 v14, v1, v14 op_sel_hi:[0,1]
	v_pk_fma_f16 v54, 0xbb7bbbf1, v3, v49 op_sel_hi:[1,0,1] neg_lo:[0,1,0] neg_hi:[0,1,0]
	v_sub_f16_e32 v20, v35, v12
	v_add_f16_e32 v0, v0, v26
	v_add_f16_e32 v21, v28, v31
	v_pk_mul_f16 v46, 0xb9fdb5ac, v19 op_sel_hi:[1,0]
	v_pk_mul_f16 v51, 0x3b15b5ac, v17 op_sel_hi:[1,0]
	v_pk_fma_f16 v45, 0xb3a8bbf1, v18, v45 op_sel_hi:[1,0,1]
	v_pk_add_f16 v53, v55, v53
	v_pk_fma_f16 v55, 0x394eb3a8, v15, v50 op_sel_hi:[1,0,1] neg_lo:[0,1,0] neg_hi:[0,1,0]
	v_pk_add_f16 v14, v44, v14
	v_pk_add_f16 v44, v1, v54 op_sel_hi:[0,1]
	v_sub_f16_e32 v41, v33, v16
	v_add_f16_e32 v0, v0, v27
	v_pk_mul_f16 v47, 0x2fb7b9fd, v21 op_sel_hi:[1,0]
	v_pk_mul_f16 v52, 0x2fb73b15, v19 op_sel_hi:[1,0]
	v_pk_fma_f16 v56, 0x394ebb7b, v20, v46 op_sel_hi:[1,0,1] neg_lo:[0,1,0] neg_hi:[0,1,0]
	v_pk_fma_f16 v46, 0x394ebb7b, v20, v46 op_sel_hi:[1,0,1]
	v_pk_fma_f16 v54, 0x37703b7b, v18, v51 op_sel_hi:[1,0,1] neg_lo:[0,1,0] neg_hi:[0,1,0]
	v_pk_add_f16 v45, v45, v14
	v_pk_add_f16 v44, v55, v44
	v_add_f16_e32 v0, v0, v28
	v_pk_fma_f16 v57, 0x3bf1b94e, v41, v47 op_sel_hi:[1,0,1] neg_lo:[0,1,0] neg_hi:[0,1,0]
	v_pk_fma_f16 v49, 0xbb7bbbf1, v3, v49 op_sel_hi:[1,0,1]
	v_pk_add_f16 v45, v46, v45
	v_pk_fma_f16 v46, 0x3bf1b94e, v41, v47 op_sel_hi:[1,0,1]
	v_pk_add_f16 v44, v54, v44
	v_pk_fma_f16 v47, 0xbbf13770, v20, v52 op_sel_hi:[1,0,1] neg_lo:[0,1,0] neg_hi:[0,1,0]
	v_add_f16_e32 v0, v0, v29
	v_pk_mul_f16 v2, 0xbbc4b9fd, v2 op_sel_hi:[1,0]
	v_pk_mul_f16 v13, 0x3b152fb7, v13 op_sel_hi:[1,0]
	;; [unrolled: 1-line block ×3, first 2 shown]
	v_pk_add_f16 v44, v47, v44
	v_pk_add_f16 v47, v1, v49 op_sel_hi:[0,1]
	v_pk_fma_f16 v49, 0x394eb3a8, v15, v50 op_sel_hi:[1,0,1]
	v_add_f16_e32 v0, v0, v30
	v_pk_fma_f16 v50, 0xb3a8b94e, v3, v2 op_sel_hi:[1,0,1] neg_lo:[0,1,0] neg_hi:[0,1,0]
	v_pk_fma_f16 v2, 0xb3a8b94e, v3, v2 op_sel_hi:[1,0,1]
	v_pk_mul_f16 v54, 0xbbc4388b, v21 op_sel_hi:[1,0]
	v_pk_add_f16 v47, v49, v47
	v_pk_fma_f16 v49, 0x37703b7b, v18, v51 op_sel_hi:[1,0,1]
	v_add_f16_e32 v0, v0, v31
	v_pk_mul_f16 v19, 0x388bbbc4, v19 op_sel_hi:[1,0]
	v_add_f16_e32 v42, v29, v30
	v_pk_add_f16 v45, v46, v45
	v_pk_add_f16 v3, v49, v47
	v_pk_add_f16 v47, v1, v50 op_sel_hi:[0,1]
	v_pk_fma_f16 v49, 0x37703bf1, v15, v13 op_sel_hi:[1,0,1] neg_lo:[0,1,0] neg_hi:[0,1,0]
	v_pk_add_f16 v1, v1, v2 op_sel_hi:[0,1]
	v_pk_fma_f16 v2, 0x37703bf1, v15, v13 op_sel_hi:[1,0,1]
	v_add_f16_e32 v0, v0, v32
	v_pk_fma_f16 v13, 0xbbf13770, v20, v52 op_sel_hi:[1,0,1]
	v_pk_add_f16 v15, v49, v47
	v_pk_fma_f16 v47, 0xb94eba95, v18, v17 op_sel_hi:[1,0,1] neg_lo:[0,1,0] neg_hi:[0,1,0]
	v_pk_add_f16 v1, v2, v1
	v_pk_fma_f16 v2, 0xb94eba95, v18, v17 op_sel_hi:[1,0,1]
	v_add_f16_e32 v0, v0, v34
	v_pk_fma_f16 v46, 0x33a8ba95, v41, v54 op_sel_hi:[1,0,1] neg_lo:[0,1,0] neg_hi:[0,1,0]
	v_pk_add_f16 v3, v13, v3
	v_pk_add_f16 v13, v47, v15
	v_pk_fma_f16 v15, 0x3a9533a8, v20, v19 op_sel_hi:[1,0,1] neg_lo:[0,1,0] neg_hi:[0,1,0]
	v_pk_mul_f16 v17, 0xb5ac3b15, v21 op_sel_hi:[1,0]
	v_pk_add_f16 v1, v2, v1
	v_pk_fma_f16 v2, 0x3a9533a8, v20, v19 op_sel_hi:[1,0,1]
	v_sub_f16_e32 v43, v25, v22
	v_pk_mul_f16 v48, 0x3b15bbc4, v42 op_sel_hi:[1,0]
	v_pk_add_f16 v53, v56, v53
	v_add_f16_e32 v0, v0, v36
	v_pk_add_f16 v44, v46, v44
	v_pk_mul_f16 v46, 0x388bb9fd, v42 op_sel_hi:[1,0]
	v_pk_fma_f16 v18, 0x33a8ba95, v41, v54 op_sel_hi:[1,0,1]
	v_pk_add_f16 v13, v15, v13
	v_pk_fma_f16 v15, 0xbb7b3770, v41, v17 op_sel_hi:[1,0,1] neg_lo:[0,1,0] neg_hi:[0,1,0]
	v_pk_mul_f16 v19, 0x2fb7b5ac, v42 op_sel_hi:[1,0]
	v_pk_add_f16 v1, v2, v1
	v_pk_fma_f16 v2, 0xbb7b3770, v41, v17 op_sel_hi:[1,0,1]
	v_pk_add_f16 v53, v57, v53
	v_add_f16_e32 v14, v0, v39
	v_pk_fma_f16 v0, 0x3770b3a8, v43, v48 op_sel_hi:[1,0,1] neg_lo:[0,1,0] neg_hi:[0,1,0]
	v_pk_fma_f16 v48, 0x3770b3a8, v43, v48 op_sel_hi:[1,0,1]
	v_pk_fma_f16 v51, 0x3a95b94e, v43, v46 op_sel_hi:[1,0,1] neg_lo:[0,1,0] neg_hi:[0,1,0]
	v_pk_add_f16 v3, v18, v3
	v_pk_fma_f16 v18, 0x3a95b94e, v43, v46 op_sel_hi:[1,0,1]
	v_pk_add_f16 v13, v15, v13
	v_pk_fma_f16 v15, 0x3bf1bb7b, v43, v19 op_sel_hi:[1,0,1] neg_lo:[0,1,0] neg_hi:[0,1,0]
	v_pk_add_f16 v20, v2, v1
	v_pk_fma_f16 v19, 0x3bf1bb7b, v43, v19 op_sel_hi:[1,0,1]
	v_pk_add_f16 v0, v0, v53
	v_pk_add_f16 v17, v48, v45
	;; [unrolled: 1-line block ×6, first 2 shown]
	v_cmp_gt_u32_e64 s1, 0x50, v9
	v_mad_u32_u24 v41, v9, 26, 0
	s_delay_alu instid0(VALU_DEP_2)
	s_and_saveexec_b32 s0, s1
	s_cbranch_execz .LBB0_15
; %bb.14:
	v_alignbit_b32 v3, v15, v15, 16
	v_alignbit_b32 v19, v18, v18, 16
	;; [unrolled: 1-line block ×3, first 2 shown]
	ds_store_b16 v41, v14
	ds_store_b128 v41, v[0:3] offset:2
	ds_store_b64 v41, v[19:20] offset:18
.LBB0_15:
	s_wait_alu 0xfffe
	s_or_b32 exec_lo, exec_lo, s0
	v_cmp_gt_u32_e64 s0, 0x41, v9
	v_lshl_add_u32 v13, v9, 1, 0
	global_wb scope:SCOPE_SE
	s_wait_dscnt 0x0
	s_barrier_signal -1
	s_barrier_wait -1
	global_inv scope:SCOPE_SE
                                        ; implicit-def: $vgpr21
                                        ; implicit-def: $vgpr20
                                        ; implicit-def: $vgpr19
	s_and_saveexec_b32 s2, s0
	s_cbranch_execz .LBB0_17
; %bb.16:
	ds_load_u16 v17, v13 offset:1560
	ds_load_u16 v15, v13 offset:1040
	;; [unrolled: 1-line block ×6, first 2 shown]
	ds_load_u16 v14, v13
	s_wait_dscnt 0x6
	ds_load_u16_d16_hi v17, v13 offset:1430
	ds_load_u16 v19, v13 offset:1950
	s_wait_dscnt 0x7
	ds_load_u16_d16_hi v15, v13 offset:910
	ds_load_u16 v20, v13 offset:1820
	s_wait_dscnt 0x8
	ds_load_u16_d16_hi v0, v13 offset:260
	s_wait_dscnt 0x8
	ds_load_u16_d16_hi v1, v13 offset:520
	;; [unrolled: 2-line block ×4, first 2 shown]
	ds_load_u16 v21, v13 offset:1690
.LBB0_17:
	s_wait_alu 0xfffe
	s_or_b32 exec_lo, exec_lo, s2
	v_add_f16_e32 v3, v4, v40
	v_sub_f16_e32 v39, v23, v39
	v_add_f16_e32 v40, v40, v5
	v_sub_f16_e32 v24, v24, v36
	v_add_f16_e32 v42, v38, v6
	v_add_f16_e32 v3, v3, v38
	v_pk_mul_f16 v23, 0xba95bbf1, v39 op_sel_hi:[1,0]
	v_sub_f16_e32 v26, v26, v34
	v_sub_f16_e32 v28, v28, v31
	v_add_f16_e32 v31, v25, v22
	v_add_f16_e32 v3, v3, v37
	v_sub_f16_e32 v29, v29, v30
	v_pk_mul_f16 v30, 0xbb7bb3a8, v24 op_sel_hi:[1,0]
	v_add_f16_e32 v36, v37, v11
	v_add_f16_e32 v34, v35, v12
	;; [unrolled: 1-line block ×3, first 2 shown]
	v_sub_f16_e32 v27, v27, v32
	v_pk_mul_f16 v35, 0xb3a83b7b, v26 op_sel_hi:[1,0]
	v_pk_fma_f16 v45, 0xb5acbbc4, v42, v30 op_sel_hi:[1,0,1] neg_lo:[0,0,1] neg_hi:[0,0,1]
	v_pk_fma_f16 v30, 0xb5acbbc4, v42, v30 op_sel_hi:[1,0,1]
	v_add_f16_e32 v3, v3, v33
	v_pk_mul_f16 v37, 0x394e3770, v27 op_sel_hi:[1,0]
	v_pk_fma_f16 v46, 0xbbc4b5ac, v36, v35 op_sel_hi:[1,0,1] neg_lo:[0,0,1] neg_hi:[0,0,1]
	v_add_f16_e32 v32, v33, v16
	v_pk_mul_f16 v33, 0x3bf1ba95, v28 op_sel_hi:[1,0]
	v_add_f16_e32 v3, v3, v25
	v_pk_fma_f16 v25, 0x388b2fb7, v40, v23 op_sel_hi:[1,0,1] neg_lo:[0,0,1] neg_hi:[0,0,1]
	v_pk_fma_f16 v23, 0x388b2fb7, v40, v23 op_sel_hi:[1,0,1]
	v_pk_mul_f16 v43, 0xbb7bb94e, v39 op_sel_hi:[1,0]
	v_pk_fma_f16 v35, 0xbbc4b5ac, v36, v35 op_sel_hi:[1,0,1]
	v_add_f16_e32 v3, v3, v22
	v_pk_add_f16 v25, v4, v25 op_sel_hi:[0,1]
	v_pk_add_f16 v23, v4, v23 op_sel_hi:[0,1]
	v_pk_fma_f16 v22, 0xb9fd3b15, v34, v37 op_sel_hi:[1,0,1] neg_lo:[0,0,1] neg_hi:[0,0,1]
	v_pk_mul_f16 v44, 0x394e3bf1, v24 op_sel_hi:[1,0]
	v_add_f16_e32 v3, v3, v16
	v_pk_add_f16 v25, v45, v25
	v_pk_add_f16 v23, v30, v23
	v_pk_fma_f16 v16, 0x2fb7388b, v32, v33 op_sel_hi:[1,0,1] neg_lo:[0,0,1] neg_hi:[0,0,1]
	v_pk_fma_f16 v30, 0xb9fd3b15, v34, v37 op_sel_hi:[1,0,1]
	v_add_f16_e32 v3, v3, v12
	v_pk_add_f16 v25, v46, v25
	v_pk_add_f16 v23, v35, v23
	v_pk_mul_f16 v38, 0x3770b94e, v29 op_sel_hi:[1,0]
	v_pk_mul_f16 v24, 0x3770ba95, v24 op_sel_hi:[1,0]
	v_add_f16_e32 v3, v3, v11
	v_pk_fma_f16 v11, 0x2fb7388b, v32, v33 op_sel_hi:[1,0,1]
	v_pk_fma_f16 v33, 0xb5acb9fd, v40, v43 op_sel_hi:[1,0,1] neg_lo:[0,0,1] neg_hi:[0,0,1]
	v_pk_add_f16 v22, v22, v25
	v_pk_add_f16 v23, v30, v23
	v_add_f16_e32 v3, v3, v6
	v_pk_fma_f16 v6, 0xb5acb9fd, v40, v43 op_sel_hi:[1,0,1]
	v_pk_add_f16 v25, v4, v33 op_sel_hi:[0,1]
	v_pk_add_f16 v22, v16, v22
	v_pk_add_f16 v11, v11, v23
	v_add_f16_e32 v16, v3, v5
	v_pk_fma_f16 v3, 0xb9fd2fb7, v42, v44 op_sel_hi:[1,0,1] neg_lo:[0,0,1] neg_hi:[0,0,1]
	v_pk_mul_f16 v5, 0x3770ba95, v26 op_sel_hi:[1,0]
	v_pk_fma_f16 v23, 0x3b15b9fd, v31, v38 op_sel_hi:[1,0,1]
	v_pk_add_f16 v6, v4, v6 op_sel_hi:[0,1]
	v_pk_fma_f16 v30, 0xb9fd2fb7, v42, v44 op_sel_hi:[1,0,1]
	v_pk_add_f16 v3, v3, v25
	v_pk_fma_f16 v25, 0x3b15388b, v36, v5 op_sel_hi:[1,0,1] neg_lo:[0,0,1] neg_hi:[0,0,1]
	v_pk_mul_f16 v33, 0xbbf133a8, v27 op_sel_hi:[1,0]
	v_pk_fma_f16 v12, 0x3b15b9fd, v31, v38 op_sel_hi:[1,0,1] neg_lo:[0,0,1] neg_hi:[0,0,1]
	v_pk_add_f16 v23, v23, v11
	v_pk_add_f16 v6, v30, v6
	v_pk_fma_f16 v5, 0x3b15388b, v36, v5 op_sel_hi:[1,0,1]
	v_pk_add_f16 v3, v25, v3
	v_pk_fma_f16 v11, 0x2fb7bbc4, v34, v33 op_sel_hi:[1,0,1] neg_lo:[0,0,1] neg_hi:[0,0,1]
	v_pk_add_f16 v12, v12, v22
	v_pk_mul_f16 v22, 0x33a83770, v28 op_sel_hi:[1,0]
	v_pk_add_f16 v5, v5, v6
	v_pk_fma_f16 v6, 0x2fb7bbc4, v34, v33 op_sel_hi:[1,0,1]
	v_pk_add_f16 v3, v11, v3
	v_pk_mul_f16 v11, 0xb3a8b770, v39 op_sel_hi:[1,0]
	v_pk_fma_f16 v25, 0xbbc43b15, v32, v22 op_sel_hi:[1,0,1] neg_lo:[0,0,1] neg_hi:[0,0,1]
	v_pk_fma_f16 v33, 0x3b15388b, v42, v24 op_sel_hi:[1,0,1]
	v_pk_add_f16 v5, v6, v5
	v_pk_fma_f16 v6, 0xbbc43b15, v32, v22 op_sel_hi:[1,0,1]
	v_pk_fma_f16 v22, 0xbbc43b15, v40, v11 op_sel_hi:[1,0,1]
	v_pk_fma_f16 v11, 0xbbc43b15, v40, v11 op_sel_hi:[1,0,1] neg_lo:[0,0,1] neg_hi:[0,0,1]
	v_pk_mul_f16 v26, 0xb94ebbf1, v26 op_sel_hi:[1,0]
	v_pk_fma_f16 v24, 0x3b15388b, v42, v24 op_sel_hi:[1,0,1] neg_lo:[0,0,1] neg_hi:[0,0,1]
	v_pk_add_f16 v5, v6, v5
	v_lshrrev_b32_e32 v6, 16, v22
	v_add_f16_e32 v22, v4, v22
	v_pk_fma_f16 v35, 0xb9fd2fb7, v36, v26 op_sel_hi:[1,0,1]
	v_pk_mul_f16 v27, 0x3a95bb7b, v27 op_sel_hi:[1,0]
	v_pk_mul_f16 v28, 0xbb7bb94e, v28 op_sel_hi:[1,0]
	v_add_f16_e32 v6, v4, v6
	v_pk_add_f16 v4, v4, v11 op_sel_hi:[0,1]
	v_lshrrev_b32_e32 v11, 16, v33
	v_add_f16_e32 v22, v33, v22
	v_pk_mul_f16 v30, 0x3a95bb7b, v29 op_sel_hi:[1,0]
	v_pk_add_f16 v3, v25, v3
	v_pk_add_f16 v4, v24, v4
	v_add_f16_e32 v6, v11, v6
	v_lshrrev_b32_e32 v11, 16, v35
	v_pk_fma_f16 v24, 0xb9fd2fb7, v36, v26 op_sel_hi:[1,0,1] neg_lo:[0,0,1] neg_hi:[0,0,1]
	v_pk_fma_f16 v26, 0x388bb5ac, v34, v27 op_sel_hi:[1,0,1]
	v_add_f16_e32 v22, v35, v22
	v_pk_fma_f16 v25, 0x388bb5ac, v31, v30 op_sel_hi:[1,0,1] neg_lo:[0,0,1] neg_hi:[0,0,1]
	v_add_f16_e32 v6, v11, v6
	v_pk_add_f16 v4, v24, v4
	v_lshrrev_b32_e32 v11, 16, v26
	v_pk_fma_f16 v24, 0x388bb5ac, v34, v27 op_sel_hi:[1,0,1] neg_lo:[0,0,1] neg_hi:[0,0,1]
	v_pk_fma_f16 v27, 0xb5acb9fd, v32, v28 op_sel_hi:[1,0,1]
	v_add_f16_e32 v22, v26, v22
	v_pk_mul_f16 v26, 0x3bf1b3a8, v29 op_sel_hi:[1,0]
	v_add_f16_e32 v6, v11, v6
	v_pk_add_f16 v4, v24, v4
	v_lshrrev_b32_e32 v11, 16, v27
	v_pk_fma_f16 v24, 0xb5acb9fd, v32, v28 op_sel_hi:[1,0,1] neg_lo:[0,0,1] neg_hi:[0,0,1]
	v_pk_fma_f16 v28, 0x2fb7bbc4, v31, v26 op_sel_hi:[1,0,1]
	v_pk_fma_f16 v29, 0x388bb5ac, v31, v30 op_sel_hi:[1,0,1]
	v_add_f16_e32 v22, v27, v22
	v_add_f16_e32 v6, v11, v6
	v_pk_add_f16 v4, v24, v4
	v_lshrrev_b32_e32 v24, 16, v28
	v_pk_fma_f16 v26, 0x2fb7bbc4, v31, v26 op_sel_hi:[1,0,1] neg_lo:[0,0,1] neg_hi:[0,0,1]
	v_pk_add_f16 v27, v29, v5
	v_pk_add_f16 v11, v25, v3
	v_add_f16_e32 v29, v28, v22
	v_add_f16_e32 v28, v24, v6
	v_pk_add_f16 v26, v26, v4
	global_wb scope:SCOPE_SE
	s_wait_dscnt 0x0
	s_barrier_signal -1
	s_barrier_wait -1
	global_inv scope:SCOPE_SE
	s_and_saveexec_b32 s2, s1
	s_cbranch_execz .LBB0_19
; %bb.18:
	v_bfi_b32 v6, 0xffff, v28, v26
	v_perm_b32 v3, v29, v16, 0x5040100
	v_alignbit_b32 v5, v27, v27, 16
	v_alignbit_b32 v4, v23, v23, 16
	ds_store_b128 v41, v[3:6]
	ds_store_b64 v41, v[11:12] offset:16
	ds_store_b16 v41, v26 offset:24
.LBB0_19:
	s_wait_alu 0xfffe
	s_or_b32 exec_lo, exec_lo, s2
	global_wb scope:SCOPE_SE
	s_wait_dscnt 0x0
	s_barrier_signal -1
	s_barrier_wait -1
	global_inv scope:SCOPE_SE
                                        ; implicit-def: $vgpr32
                                        ; implicit-def: $vgpr30
                                        ; implicit-def: $vgpr31
	s_and_saveexec_b32 s1, s0
	s_cbranch_execz .LBB0_21
; %bb.20:
	ds_load_u16 v26, v13 offset:1560
	ds_load_u16 v23, v13 offset:390
	;; [unrolled: 1-line block ×5, first 2 shown]
	s_wait_dscnt 0x4
	ds_load_u16_d16_hi v26, v13 offset:910
	ds_load_u16 v30, v13 offset:1820
	ds_load_u16 v16, v13
	ds_load_u16 v29, v13 offset:130
	s_wait_dscnt 0x7
	ds_load_u16_d16_hi v23, v13 offset:260
	s_wait_dscnt 0x7
	ds_load_u16_d16_hi v27, v13 offset:520
	ds_load_u16 v28, v13 offset:780
	s_wait_dscnt 0x8
	ds_load_u16_d16_hi v12, v13 offset:1430
	ds_load_u16 v31, v13 offset:1950
	;; [unrolled: 3-line block ×3, first 2 shown]
.LBB0_21:
	s_wait_alu 0xfffe
	s_or_b32 exec_lo, exec_lo, s1
	v_and_b32_e32 v3, 0xff, v9
	v_lshrrev_b32_e32 v45, 16, v0
	s_wait_dscnt 0x6
	v_lshrrev_b32_e32 v46, 16, v23
	v_lshrrev_b32_e32 v47, 16, v1
	s_wait_dscnt 0x5
	v_lshrrev_b32_e32 v48, 16, v27
	v_mul_lo_u16 v3, 0x4f, v3
	v_lshrrev_b32_e32 v49, 16, v2
	v_lshrrev_b32_e32 v50, 16, v15
	;; [unrolled: 1-line block ×4, first 2 shown]
	v_lshrrev_b16 v44, 10, v3
	s_wait_dscnt 0x1
	v_lshrrev_b32_e32 v53, 16, v11
	v_lshrrev_b32_e32 v54, 16, v17
	;; [unrolled: 1-line block ×3, first 2 shown]
	v_mul_lo_u16 v3, v44, 13
	s_delay_alu instid0(VALU_DEP_1) | instskip(NEXT) | instid1(VALU_DEP_1)
	v_sub_nc_u16 v3, v9, v3
	v_and_b32_e32 v22, 0xff, v3
	s_delay_alu instid0(VALU_DEP_1) | instskip(NEXT) | instid1(VALU_DEP_1)
	v_mul_u32_u24_e32 v3, 15, v22
	v_lshlrev_b32_e32 v24, 2, v3
	s_clause 0x3
	global_load_b128 v[33:36], v24, s[4:5]
	global_load_b128 v[3:6], v24, s[4:5] offset:16
	global_load_b128 v[37:40], v24, s[4:5] offset:32
	global_load_b96 v[41:43], v24, s[4:5] offset:48
	global_wb scope:SCOPE_SE
	s_wait_loadcnt_dscnt 0x0
	s_barrier_signal -1
	s_barrier_wait -1
	global_inv scope:SCOPE_SE
	v_lshrrev_b32_e32 v25, 16, v33
	v_lshrrev_b32_e32 v56, 16, v34
	;; [unrolled: 1-line block ×14, first 2 shown]
	v_mul_f16_e32 v69, v29, v25
	v_mul_f16_e32 v70, v0, v25
	v_mul_f16_e32 v71, v46, v56
	v_mul_f16_e32 v56, v45, v56
	v_mul_f16_e32 v72, v23, v57
	v_mul_f16_e32 v57, v1, v57
	v_mul_f16_e32 v73, v48, v58
	v_mul_f16_e32 v25, v47, v58
	v_mul_f16_e32 v58, v27, v59
	v_mul_f16_e32 v59, v2, v59
	v_mul_f16_e32 v74, v28, v60
	v_mul_f16_e32 v60, v49, v60
	v_mul_f16_e32 v75, v51, v61
	v_mul_f16_e32 v61, v50, v61
	v_mul_f16_e32 v76, v53, v62
	v_mul_f16_e32 v62, v52, v62
	v_mul_f16_e32 v77, v12, v63
	v_mul_f16_e32 v63, v18, v63
	v_mul_f16_e32 v78, v55, v64
	v_mul_f16_e32 v64, v54, v64
	v_mul_f16_e32 v79, v26, v65
	v_mul_f16_e32 v80, v32, v66
	v_mul_f16_e32 v66, v21, v66
	v_mul_f16_e32 v81, v30, v67
	v_mul_f16_e32 v67, v20, v67
	v_mul_f16_e32 v82, v31, v68
	v_mul_f16_e32 v68, v19, v68
	v_mul_f16_e32 v65, v17, v65
	v_fma_f16 v69, v0, v33, -v69
	v_fmac_f16_e32 v70, v29, v33
	v_fma_f16 v29, v45, v34, -v71
	v_fmac_f16_e32 v56, v46, v34
	;; [unrolled: 2-line block ×9, first 2 shown]
	v_fma_f16 v5, v17, v40, -v79
	v_fma_f16 v17, v21, v41, -v80
	v_fmac_f16_e32 v66, v32, v41
	v_fma_f16 v20, v20, v42, -v81
	v_fmac_f16_e32 v67, v30, v42
	;; [unrolled: 2-line block ×3, first 2 shown]
	v_fmac_f16_e32 v65, v26, v40
	v_sub_f16_e32 v18, v29, v18
	v_sub_f16_e32 v21, v56, v63
	;; [unrolled: 1-line block ×12, first 2 shown]
	v_fma_f16 v0, v47, v36, -v73
	v_fmac_f16_e32 v25, v48, v36
	v_fma_f16 v1, v29, 2.0, -v18
	v_fma_f16 v20, v56, 2.0, -v21
	v_fma_f16 v3, v3, 2.0, -v26
	v_fma_f16 v29, v60, 2.0, -v27
	v_fma_f16 v35, v69, 2.0, -v28
	v_fma_f16 v36, v70, 2.0, -v30
	v_fma_f16 v2, v2, 2.0, -v17
	v_fma_f16 v37, v59, 2.0, -v31
	v_fma_f16 v33, v33, 2.0, -v23
	v_fma_f16 v39, v57, 2.0, -v32
	v_fma_f16 v4, v4, 2.0, -v19
	v_fma_f16 v40, v61, 2.0, -v34
	v_sub_f16_e32 v27, v18, v27
	v_add_f16_e32 v26, v21, v26
	v_sub_f16_e32 v31, v28, v31
	v_add_f16_e32 v42, v30, v17
	;; [unrolled: 2-line block ×3, first 2 shown]
	v_sub_f16_e32 v17, v1, v3
	v_sub_f16_e32 v38, v20, v29
	v_fma_f16 v3, v18, 2.0, -v27
	v_fma_f16 v21, v21, 2.0, -v26
	v_sub_f16_e32 v29, v35, v2
	v_sub_f16_e32 v37, v36, v37
	v_fma_f16 v43, v28, 2.0, -v31
	v_fma_f16 v45, v30, 2.0, -v42
	;; [unrolled: 4-line block ×3, first 2 shown]
	v_mul_f16_e32 v18, 0x39a8, v27
	v_mul_f16_e32 v23, 0x39a8, v26
	v_fmamk_f16 v19, v34, 0x39a8, v31
	v_fmamk_f16 v26, v41, 0x39a8, v42
	v_fma_f16 v2, v35, 2.0, -v29
	v_fma_f16 v35, v33, 2.0, -v4
	v_mul_f16_e32 v28, 0x39a8, v3
	v_mul_f16_e32 v33, 0x39a8, v21
	v_fmamk_f16 v21, v40, 0xb9a8, v43
	v_fmamk_f16 v27, v46, 0xb9a8, v45
	v_sub_f16_e32 v3, v29, v30
	v_add_f16_e32 v4, v37, v4
	v_fma_f16 v32, v36, 2.0, -v37
	v_fma_f16 v36, v39, 2.0, -v30
	v_fmac_f16_e32 v19, 0xb9a8, v41
	v_fmac_f16_e32 v26, 0x39a8, v34
	v_sub_f16_e32 v30, v2, v35
	v_fmac_f16_e32 v21, 0xb9a8, v46
	v_fmac_f16_e32 v27, 0x39a8, v40
	v_fma_f16 v35, v29, 2.0, -v3
	v_fma_f16 v39, v37, 2.0, -v4
	v_lshrrev_b32_e32 v24, 16, v6
	v_sub_f16_e32 v5, v0, v5
	v_sub_f16_e32 v12, v25, v65
	;; [unrolled: 1-line block ×3, first 2 shown]
	v_fma_f16 v29, v31, 2.0, -v19
	v_fma_f16 v34, v42, 2.0, -v26
	v_mul_f16_e32 v36, 0x39a8, v3
	v_mul_f16_e32 v40, 0x39a8, v4
	v_fma_f16 v31, v43, 2.0, -v21
	v_fma_f16 v37, v45, 2.0, -v27
	v_mul_f16_e32 v35, 0x39a8, v35
	v_mul_f16_e32 v39, 0x39a8, v39
	v_and_b32_e32 v42, 0xffff, v44
	s_and_saveexec_b32 s1, s0
	s_cbranch_execz .LBB0_23
; %bb.22:
	v_mul_f16_e32 v3, v11, v24
	v_fma_f16 v0, v0, 2.0, -v5
	v_fma_f16 v1, v1, 2.0, -v17
	v_mul_u32_u24_e32 v43, 0xd0, v42
	v_fma_f16 v2, v2, 2.0, -v30
	v_fma_f16 v3, v15, v6, -v3
	s_delay_alu instid0(VALU_DEP_3) | instskip(NEXT) | instid1(VALU_DEP_2)
	v_or_b32_e32 v43, v43, v22
	v_sub_f16_e32 v3, v14, v3
	s_delay_alu instid0(VALU_DEP_2) | instskip(NEXT) | instid1(VALU_DEP_2)
	v_lshl_add_u32 v43, v43, 1, 0
	v_sub_f16_e32 v4, v3, v12
	v_fma_f16 v14, v14, 2.0, -v3
	s_delay_alu instid0(VALU_DEP_2) | instskip(NEXT) | instid1(VALU_DEP_2)
	v_fma_f16 v3, v3, 2.0, -v4
	v_sub_f16_e32 v0, v14, v0
	v_add_f16_e32 v44, v4, v18
	s_delay_alu instid0(VALU_DEP_3) | instskip(NEXT) | instid1(VALU_DEP_3)
	v_sub_f16_e32 v45, v3, v28
	v_fma_f16 v14, v14, 2.0, -v0
	v_sub_f16_e32 v46, v0, v38
	s_delay_alu instid0(VALU_DEP_4) | instskip(NEXT) | instid1(VALU_DEP_4)
	v_sub_f16_e32 v44, v44, v23
	v_sub_f16_e32 v45, v45, v33
	s_delay_alu instid0(VALU_DEP_4) | instskip(NEXT) | instid1(VALU_DEP_4)
	v_sub_f16_e32 v1, v14, v1
	v_fma_f16 v0, v0, 2.0, -v46
	s_delay_alu instid0(VALU_DEP_4)
	v_fma_f16 v4, v4, 2.0, -v44
	v_fmamk_f16 v47, v19, 0x3b64, v44
	v_fma_f16 v3, v3, 2.0, -v45
	v_fma_f16 v14, v14, 2.0, -v1
	v_sub_f16_e32 v51, v0, v35
	v_fmamk_f16 v49, v29, 0xb61f, v4
	v_add_f16_e32 v48, v46, v36
	v_fmamk_f16 v53, v31, 0xbb64, v3
	v_fmamk_f16 v50, v21, 0x361f, v45
	v_sub_f16_e32 v2, v14, v2
	v_sub_f16_e32 v51, v51, v39
	v_fmac_f16_e32 v49, 0xbb64, v34
	v_fmac_f16_e32 v53, 0xb61f, v37
	v_sub_f16_e32 v52, v1, v41
	v_fmac_f16_e32 v47, 0xb61f, v26
	v_sub_f16_e32 v48, v48, v40
	v_fmac_f16_e32 v50, 0xbb64, v27
	v_fma_f16 v14, v14, 2.0, -v2
	v_fma_f16 v3, v3, 2.0, -v53
	v_fma_f16 v0, v0, 2.0, -v51
	v_fma_f16 v4, v4, 2.0, -v49
	v_fma_f16 v1, v1, 2.0, -v52
	v_fma_f16 v44, v44, 2.0, -v47
	v_fma_f16 v46, v46, 2.0, -v48
	v_fma_f16 v45, v45, 2.0, -v50
	ds_store_b16 v43, v14
	ds_store_b16 v43, v3 offset:26
	ds_store_b16 v43, v0 offset:52
	;; [unrolled: 1-line block ×15, first 2 shown]
.LBB0_23:
	s_wait_alu 0xfffe
	s_or_b32 exec_lo, exec_lo, s1
	global_wb scope:SCOPE_SE
	s_wait_dscnt 0x0
	s_barrier_signal -1
	s_barrier_wait -1
	global_inv scope:SCOPE_SE
	ds_load_u16 v0, v13
	ds_load_u16 v1, v13 offset:416
	ds_load_u16 v3, v13 offset:832
	;; [unrolled: 1-line block ×4, first 2 shown]
	global_wb scope:SCOPE_SE
	s_wait_dscnt 0x0
	s_barrier_signal -1
	s_barrier_wait -1
	global_inv scope:SCOPE_SE
	s_and_saveexec_b32 s1, s0
	s_cbranch_execz .LBB0_25
; %bb.24:
	v_mul_f16_e32 v14, v15, v24
	v_mul_u32_u24_e32 v15, 0xd0, v42
	s_delay_alu instid0(VALU_DEP_2) | instskip(SKIP_1) | instid1(VALU_DEP_3)
	v_fmac_f16_e32 v14, v11, v6
	v_fma_f16 v11, v25, 2.0, -v12
	v_or_b32_e32 v15, v15, v22
	s_delay_alu instid0(VALU_DEP_3) | instskip(SKIP_1) | instid1(VALU_DEP_3)
	v_sub_f16_e32 v6, v16, v14
	v_fma_f16 v14, v20, 2.0, -v38
	v_lshl_add_u32 v15, v15, 1, 0
	s_delay_alu instid0(VALU_DEP_3) | instskip(SKIP_2) | instid1(VALU_DEP_3)
	v_add_f16_e32 v5, v6, v5
	v_fma_f16 v12, v16, 2.0, -v6
	v_fma_f16 v16, v32, 2.0, -v41
	v_fma_f16 v6, v6, 2.0, -v5
	s_delay_alu instid0(VALU_DEP_3) | instskip(SKIP_1) | instid1(VALU_DEP_3)
	v_sub_f16_e32 v11, v12, v11
	v_add_f16_e32 v20, v5, v23
	v_sub_f16_e32 v22, v6, v33
	s_delay_alu instid0(VALU_DEP_3) | instskip(NEXT) | instid1(VALU_DEP_3)
	v_fma_f16 v12, v12, 2.0, -v11
	v_add_f16_e32 v18, v18, v20
	v_add_f16_e32 v17, v11, v17
	s_delay_alu instid0(VALU_DEP_4) | instskip(NEXT) | instid1(VALU_DEP_4)
	v_add_f16_e32 v20, v28, v22
	v_sub_f16_e32 v14, v12, v14
	s_delay_alu instid0(VALU_DEP_4) | instskip(NEXT) | instid1(VALU_DEP_4)
	v_fmamk_f16 v23, v26, 0x3b64, v18
	v_fma_f16 v11, v11, 2.0, -v17
	v_fma_f16 v5, v5, 2.0, -v18
	;; [unrolled: 1-line block ×4, first 2 shown]
	v_fmac_f16_e32 v23, 0x361f, v19
	v_sub_f16_e32 v24, v11, v39
	v_fmamk_f16 v25, v34, 0xb61f, v5
	v_fmamk_f16 v19, v37, 0xbb64, v6
	v_add_f16_e32 v22, v17, v40
	v_fmamk_f16 v27, v27, 0x361f, v20
	v_sub_f16_e32 v16, v12, v16
	v_add_f16_e32 v24, v35, v24
	v_fmac_f16_e32 v19, 0x361f, v31
	v_fmac_f16_e32 v25, 0x3b64, v29
	v_add_f16_e32 v26, v14, v30
	v_add_f16_e32 v22, v36, v22
	v_fmac_f16_e32 v27, 0x3b64, v21
	v_fma_f16 v12, v12, 2.0, -v16
	v_fma_f16 v6, v6, 2.0, -v19
	;; [unrolled: 1-line block ×8, first 2 shown]
	ds_store_b16 v15, v12
	ds_store_b16 v15, v6 offset:26
	ds_store_b16 v15, v11 offset:52
	ds_store_b16 v15, v5 offset:78
	ds_store_b16 v15, v14 offset:104
	ds_store_b16 v15, v20 offset:130
	ds_store_b16 v15, v17 offset:156
	ds_store_b16 v15, v18 offset:182
	ds_store_b16 v15, v16 offset:208
	ds_store_b16 v15, v19 offset:234
	ds_store_b16 v15, v24 offset:260
	ds_store_b16 v15, v25 offset:286
	ds_store_b16 v15, v26 offset:312
	ds_store_b16 v15, v27 offset:338
	ds_store_b16 v15, v22 offset:364
	ds_store_b16 v15, v23 offset:390
.LBB0_25:
	s_wait_alu 0xfffe
	s_or_b32 exec_lo, exec_lo, s1
	global_wb scope:SCOPE_SE
	s_wait_dscnt 0x0
	s_barrier_signal -1
	s_barrier_wait -1
	global_inv scope:SCOPE_SE
	s_and_saveexec_b32 s0, vcc_lo
	s_cbranch_execz .LBB0_27
; %bb.26:
	v_dual_mov_b32 v6, 0 :: v_dual_lshlrev_b32 v5, 2, v9
	v_lshlrev_b64_e32 v[7:8], 2, v[7:8]
	s_delay_alu instid0(VALU_DEP_2) | instskip(NEXT) | instid1(VALU_DEP_1)
	v_lshlrev_b64_e32 v[11:12], 2, v[5:6]
	v_add_co_u32 v11, vcc_lo, s4, v11
	s_wait_alu 0xfffd
	s_delay_alu instid0(VALU_DEP_2) | instskip(NEXT) | instid1(VALU_DEP_4)
	v_add_co_ci_u32_e32 v12, vcc_lo, s5, v12, vcc_lo
	v_add_co_u32 v7, vcc_lo, s8, v7
	s_wait_alu 0xfffd
	v_add_co_ci_u32_e32 v8, vcc_lo, s9, v8, vcc_lo
	global_load_b128 v[14:17], v[11:12], off offset:780
	ds_load_u16 v9, v13 offset:832
	ds_load_u16 v12, v13 offset:1248
	;; [unrolled: 1-line block ×4, first 2 shown]
	ds_load_u16 v13, v13
	v_mov_b32_e32 v11, v6
	s_delay_alu instid0(VALU_DEP_1)
	v_lshlrev_b64_e32 v[5:6], 2, v[10:11]
	s_wait_loadcnt 0x0
	v_lshrrev_b32_e32 v20, 16, v14
	v_lshrrev_b32_e32 v21, 16, v15
	;; [unrolled: 1-line block ×4, first 2 shown]
	s_delay_alu instid0(VALU_DEP_4) | instskip(NEXT) | instid1(VALU_DEP_4)
	v_mul_f16_e32 v10, v1, v20
	v_mul_f16_e32 v11, v3, v21
	s_delay_alu instid0(VALU_DEP_4) | instskip(NEXT) | instid1(VALU_DEP_4)
	v_mul_f16_e32 v24, v2, v22
	v_mul_f16_e32 v25, v4, v23
	s_wait_dscnt 0x4
	v_mul_f16_e32 v21, v9, v21
	s_wait_dscnt 0x3
	;; [unrolled: 2-line block ×4, first 2 shown]
	v_mul_f16_e32 v22, v19, v22
	v_fmac_f16_e32 v10, v18, v14
	v_fmac_f16_e32 v11, v9, v15
	;; [unrolled: 1-line block ×4, first 2 shown]
	v_fma_f16 v3, v3, v15, -v21
	v_fma_f16 v4, v4, v16, -v23
	;; [unrolled: 1-line block ×4, first 2 shown]
	v_add_co_u32 v1, vcc_lo, v7, v5
	s_wait_alu 0xfffd
	v_add_co_ci_u32_e32 v2, vcc_lo, v8, v6, vcc_lo
	v_sub_f16_e32 v5, v10, v11
	v_sub_f16_e32 v6, v24, v25
	v_add_f16_e32 v14, v11, v25
	v_sub_f16_e32 v15, v9, v3
	v_sub_f16_e32 v16, v12, v4
	v_add_f16_e32 v17, v3, v4
	v_add_f16_e32 v22, v10, v24
	v_add_f16_e32 v27, v9, v12
	v_sub_f16_e32 v8, v9, v12
	v_sub_f16_e32 v18, v10, v24
	;; [unrolled: 1-line block ×4, first 2 shown]
	s_wait_dscnt 0x0
	v_add_f16_e32 v10, v10, v13
	v_add_f16_e32 v9, v0, v9
	;; [unrolled: 1-line block ×3, first 2 shown]
	v_fma_f16 v6, -0.5, v14, v13
	v_add_f16_e32 v14, v15, v16
	v_fma_f16 v15, -0.5, v17, v0
	v_sub_f16_e32 v7, v3, v4
	v_sub_f16_e32 v19, v11, v25
	;; [unrolled: 1-line block ×3, first 2 shown]
	v_fma_f16 v13, -0.5, v22, v13
	v_fma_f16 v0, -0.5, v27, v0
	v_add_f16_e32 v10, v11, v10
	v_add_f16_e32 v3, v9, v3
	v_fmamk_f16 v9, v8, 0x3b9c, v6
	v_fmamk_f16 v11, v18, 0xbb9c, v15
	v_fmac_f16_e32 v6, 0xbb9c, v8
	v_fmac_f16_e32 v15, 0x3b9c, v18
	v_sub_f16_e32 v26, v4, v12
	v_add_f16_e32 v16, v20, v21
	v_fmamk_f16 v20, v7, 0xbb9c, v13
	v_fmamk_f16 v21, v19, 0x3b9c, v0
	v_fmac_f16_e32 v13, 0x3b9c, v7
	v_fmac_f16_e32 v0, 0xbb9c, v19
	v_add_f16_e32 v10, v25, v10
	v_add_f16_e32 v3, v3, v4
	v_fmac_f16_e32 v6, 0xb8b4, v7
	v_fmac_f16_e32 v15, 0x38b4, v19
	v_add_f16_e32 v17, v23, v26
	v_fmac_f16_e32 v13, 0xb8b4, v8
	v_fmac_f16_e32 v0, 0x38b4, v18
	;; [unrolled: 1-line block ×6, first 2 shown]
	v_add_f16_e32 v4, v24, v10
	v_add_f16_e32 v3, v12, v3
	v_fmac_f16_e32 v6, 0x34f2, v5
	v_fmac_f16_e32 v15, 0x34f2, v14
	;; [unrolled: 1-line block ×8, first 2 shown]
	v_pack_b32_f16 v3, v3, v4
	v_pack_b32_f16 v4, v15, v6
	;; [unrolled: 1-line block ×5, first 2 shown]
	s_clause 0x4
	global_store_b32 v[1:2], v3, off
	global_store_b32 v[1:2], v4, off offset:832
	global_store_b32 v[1:2], v0, off offset:1664
	;; [unrolled: 1-line block ×4, first 2 shown]
.LBB0_27:
	s_nop 0
	s_sendmsg sendmsg(MSG_DEALLOC_VGPRS)
	s_endpgm
	.section	.rodata,"a",@progbits
	.p2align	6, 0x0
	.amdhsa_kernel fft_rtc_fwd_len1040_factors_13_16_5_wgs_208_tpt_208_halfLds_half_ip_CI_unitstride_sbrr_dirReg
		.amdhsa_group_segment_fixed_size 0
		.amdhsa_private_segment_fixed_size 0
		.amdhsa_kernarg_size 88
		.amdhsa_user_sgpr_count 2
		.amdhsa_user_sgpr_dispatch_ptr 0
		.amdhsa_user_sgpr_queue_ptr 0
		.amdhsa_user_sgpr_kernarg_segment_ptr 1
		.amdhsa_user_sgpr_dispatch_id 0
		.amdhsa_user_sgpr_private_segment_size 0
		.amdhsa_wavefront_size32 1
		.amdhsa_uses_dynamic_stack 0
		.amdhsa_enable_private_segment 0
		.amdhsa_system_sgpr_workgroup_id_x 1
		.amdhsa_system_sgpr_workgroup_id_y 0
		.amdhsa_system_sgpr_workgroup_id_z 0
		.amdhsa_system_sgpr_workgroup_info 0
		.amdhsa_system_vgpr_workitem_id 0
		.amdhsa_next_free_vgpr 83
		.amdhsa_next_free_sgpr 32
		.amdhsa_reserve_vcc 1
		.amdhsa_float_round_mode_32 0
		.amdhsa_float_round_mode_16_64 0
		.amdhsa_float_denorm_mode_32 3
		.amdhsa_float_denorm_mode_16_64 3
		.amdhsa_fp16_overflow 0
		.amdhsa_workgroup_processor_mode 1
		.amdhsa_memory_ordered 1
		.amdhsa_forward_progress 0
		.amdhsa_round_robin_scheduling 0
		.amdhsa_exception_fp_ieee_invalid_op 0
		.amdhsa_exception_fp_denorm_src 0
		.amdhsa_exception_fp_ieee_div_zero 0
		.amdhsa_exception_fp_ieee_overflow 0
		.amdhsa_exception_fp_ieee_underflow 0
		.amdhsa_exception_fp_ieee_inexact 0
		.amdhsa_exception_int_div_zero 0
	.end_amdhsa_kernel
	.text
.Lfunc_end0:
	.size	fft_rtc_fwd_len1040_factors_13_16_5_wgs_208_tpt_208_halfLds_half_ip_CI_unitstride_sbrr_dirReg, .Lfunc_end0-fft_rtc_fwd_len1040_factors_13_16_5_wgs_208_tpt_208_halfLds_half_ip_CI_unitstride_sbrr_dirReg
                                        ; -- End function
	.section	.AMDGPU.csdata,"",@progbits
; Kernel info:
; codeLenInByte = 7220
; NumSgprs: 34
; NumVgprs: 83
; ScratchSize: 0
; MemoryBound: 0
; FloatMode: 240
; IeeeMode: 1
; LDSByteSize: 0 bytes/workgroup (compile time only)
; SGPRBlocks: 4
; VGPRBlocks: 10
; NumSGPRsForWavesPerEU: 34
; NumVGPRsForWavesPerEU: 83
; Occupancy: 16
; WaveLimiterHint : 1
; COMPUTE_PGM_RSRC2:SCRATCH_EN: 0
; COMPUTE_PGM_RSRC2:USER_SGPR: 2
; COMPUTE_PGM_RSRC2:TRAP_HANDLER: 0
; COMPUTE_PGM_RSRC2:TGID_X_EN: 1
; COMPUTE_PGM_RSRC2:TGID_Y_EN: 0
; COMPUTE_PGM_RSRC2:TGID_Z_EN: 0
; COMPUTE_PGM_RSRC2:TIDIG_COMP_CNT: 0
	.text
	.p2alignl 7, 3214868480
	.fill 96, 4, 3214868480
	.type	__hip_cuid_6ab97c7c31f7ef34,@object ; @__hip_cuid_6ab97c7c31f7ef34
	.section	.bss,"aw",@nobits
	.globl	__hip_cuid_6ab97c7c31f7ef34
__hip_cuid_6ab97c7c31f7ef34:
	.byte	0                               ; 0x0
	.size	__hip_cuid_6ab97c7c31f7ef34, 1

	.ident	"AMD clang version 19.0.0git (https://github.com/RadeonOpenCompute/llvm-project roc-6.4.0 25133 c7fe45cf4b819c5991fe208aaa96edf142730f1d)"
	.section	".note.GNU-stack","",@progbits
	.addrsig
	.addrsig_sym __hip_cuid_6ab97c7c31f7ef34
	.amdgpu_metadata
---
amdhsa.kernels:
  - .args:
      - .actual_access:  read_only
        .address_space:  global
        .offset:         0
        .size:           8
        .value_kind:     global_buffer
      - .offset:         8
        .size:           8
        .value_kind:     by_value
      - .actual_access:  read_only
        .address_space:  global
        .offset:         16
        .size:           8
        .value_kind:     global_buffer
      - .actual_access:  read_only
        .address_space:  global
        .offset:         24
        .size:           8
        .value_kind:     global_buffer
      - .offset:         32
        .size:           8
        .value_kind:     by_value
      - .actual_access:  read_only
        .address_space:  global
        .offset:         40
        .size:           8
        .value_kind:     global_buffer
      - .actual_access:  read_only
        .address_space:  global
        .offset:         48
        .size:           8
        .value_kind:     global_buffer
      - .offset:         56
        .size:           4
        .value_kind:     by_value
      - .actual_access:  read_only
        .address_space:  global
        .offset:         64
        .size:           8
        .value_kind:     global_buffer
      - .actual_access:  read_only
        .address_space:  global
        .offset:         72
        .size:           8
        .value_kind:     global_buffer
      - .address_space:  global
        .offset:         80
        .size:           8
        .value_kind:     global_buffer
    .group_segment_fixed_size: 0
    .kernarg_segment_align: 8
    .kernarg_segment_size: 88
    .language:       OpenCL C
    .language_version:
      - 2
      - 0
    .max_flat_workgroup_size: 208
    .name:           fft_rtc_fwd_len1040_factors_13_16_5_wgs_208_tpt_208_halfLds_half_ip_CI_unitstride_sbrr_dirReg
    .private_segment_fixed_size: 0
    .sgpr_count:     34
    .sgpr_spill_count: 0
    .symbol:         fft_rtc_fwd_len1040_factors_13_16_5_wgs_208_tpt_208_halfLds_half_ip_CI_unitstride_sbrr_dirReg.kd
    .uniform_work_group_size: 1
    .uses_dynamic_stack: false
    .vgpr_count:     83
    .vgpr_spill_count: 0
    .wavefront_size: 32
    .workgroup_processor_mode: 1
amdhsa.target:   amdgcn-amd-amdhsa--gfx1201
amdhsa.version:
  - 1
  - 2
...

	.end_amdgpu_metadata
